;; amdgpu-corpus repo=ROCm/rocFFT kind=compiled arch=gfx1030 opt=O3
	.text
	.amdgcn_target "amdgcn-amd-amdhsa--gfx1030"
	.amdhsa_code_object_version 6
	.protected	fft_rtc_back_len17_factors_17_wgs_120_tpt_1_dp_op_CI_CI_sbrc_xy_z_diag_dirReg ; -- Begin function fft_rtc_back_len17_factors_17_wgs_120_tpt_1_dp_op_CI_CI_sbrc_xy_z_diag_dirReg
	.globl	fft_rtc_back_len17_factors_17_wgs_120_tpt_1_dp_op_CI_CI_sbrc_xy_z_diag_dirReg
	.p2align	8
	.type	fft_rtc_back_len17_factors_17_wgs_120_tpt_1_dp_op_CI_CI_sbrc_xy_z_diag_dirReg,@function
fft_rtc_back_len17_factors_17_wgs_120_tpt_1_dp_op_CI_CI_sbrc_xy_z_diag_dirReg: ; @fft_rtc_back_len17_factors_17_wgs_120_tpt_1_dp_op_CI_CI_sbrc_xy_z_diag_dirReg
; %bb.0:
	s_clause 0x1
	s_load_dwordx8 s[8:15], s[4:5], 0x8
	s_load_dwordx4 s[16:19], s[4:5], 0x58
	v_mul_u32_u24_e32 v7, 0xf10, v0
	v_mov_b32_e32 v11, 0xf10
	v_add_nc_u16 v18, v0, 0x78
	v_add_nc_u16 v19, v0, 0xf0
	;; [unrolled: 1-line block ×3, first 2 shown]
	v_lshrrev_b32_e32 v7, 16, v7
	v_mov_b32_e32 v28, 0
	v_mul_u32_u24_sdwa v13, v18, v11 dst_sel:DWORD dst_unused:UNUSED_PAD src0_sel:WORD_0 src1_sel:DWORD
	v_mul_u32_u24_sdwa v14, v19, v11 dst_sel:DWORD dst_unused:UNUSED_PAD src0_sel:WORD_0 src1_sel:DWORD
	;; [unrolled: 1-line block ×3, first 2 shown]
	v_mul_lo_u16 v27, v7, 17
	v_add_nc_u16 v1, v0, 0x1e0
	v_add_nc_u16 v4, v0, 0x348
	;; [unrolled: 1-line block ×7, first 2 shown]
	s_waitcnt lgkmcnt(0)
	s_load_dwordx4 s[0:3], s[10:11], 0x8
	s_load_dword s20, s[12:13], 0x10
	s_mov_b32 s11, 0
	v_add_nc_u16 v9, v0, 0x528
	v_add_nc_u16 v10, v0, 0x5a0
	v_add_nc_u16 v15, v0, 0x618
	v_add_nc_u16 v17, v0, 0x690
	v_add_nc_u16 v21, v0, 0x708
	v_or_b32_e32 v22, 0x780, v0
	v_mul_u32_u24_sdwa v31, v1, v11 dst_sel:DWORD dst_unused:UNUSED_PAD src0_sel:WORD_0 src1_sel:DWORD
	v_mul_u32_u24_sdwa v25, v4, v11 dst_sel:DWORD dst_unused:UNUSED_PAD src0_sel:WORD_0 src1_sel:DWORD
	;; [unrolled: 1-line block ×11, first 2 shown]
	s_waitcnt lgkmcnt(0)
	s_add_i32 s1, s2, -1
	v_mul_u32_u24_sdwa v56, v21, v11 dst_sel:DWORD dst_unused:UNUSED_PAD src0_sel:WORD_0 src1_sel:DWORD
	s_mul_hi_u32 s1, s1, 0x88888889
	v_mul_u32_u24_sdwa v11, v22, v11 dst_sel:DWORD dst_unused:UNUSED_PAD src0_sel:WORD_0 src1_sel:DWORD
	s_lshr_b32 s1, s1, 6
	v_lshrrev_b32_e32 v86, 16, v31
	s_add_i32 s1, s1, 1
	v_lshrrev_b32_e32 v89, 16, v25
	s_mul_i32 s0, s1, s0
	v_lshrrev_b32_e32 v87, 16, v23
	v_cvt_f32_u32_e32 v12, s0
	s_sub_i32 s2, 0, s0
	v_lshrrev_b32_e32 v88, 16, v24
	v_lshrrev_b32_e32 v90, 16, v26
	;; [unrolled: 1-line block ×3, first 2 shown]
	v_rcp_iflag_f32_e32 v12, v12
	v_lshrrev_b32_e32 v96, 16, v55
	v_lshrrev_b32_e32 v98, 16, v11
	v_mul_lo_u16 v11, v86, 17
	v_mul_lo_u16 v25, v89, 17
	v_lshrrev_b32_e32 v97, 16, v56
	v_mul_lo_u16 v23, v87, 17
	v_mul_lo_u16 v24, v88, 17
	;; [unrolled: 1-line block ×3, first 2 shown]
	v_sub_nc_u16 v99, v1, v11
	v_mul_f32_e32 v12, 0x4f7ffffe, v12
	v_sub_nc_u16 v102, v4, v25
	v_mul_lo_u16 v4, v96, 17
	v_lshrrev_b32_e32 v92, 16, v30
	v_lshrrev_b32_e32 v93, 16, v32
	v_cvt_u32_f32_e32 v12, v12
	v_lshrrev_b32_e32 v94, 16, v53
	v_sub_nc_u16 v100, v2, v23
	v_sub_nc_u16 v101, v3, v24
	;; [unrolled: 1-line block ×3, first 2 shown]
	v_readfirstlane_b32 s1, v12
	v_lshrrev_b32_e32 v12, 16, v13
	v_lshrrev_b32_e32 v13, 16, v14
	;; [unrolled: 1-line block ×3, first 2 shown]
	v_sub_nc_u16 v16, v0, v27
	s_mul_i32 s2, s2, s1
	v_mul_lo_u32 v27, s20, v7
	s_mul_hi_u32 s2, s1, s2
	v_mul_lo_u16 v35, v12, 17
	s_add_i32 s1, s1, s2
	v_mul_lo_u16 v36, v13, 17
	s_mul_hi_u32 s1, s6, s1
	v_mul_lo_u16 v37, v14, 17
	s_mul_i32 s2, s1, s0
	s_add_i32 s3, s1, 1
	s_sub_i32 s2, s6, s2
	v_lshlrev_b64 v[33:34], 4, v[27:28]
	s_sub_i32 s4, s2, s0
	s_cmp_ge_u32 s2, s0
	v_mul_lo_u32 v27, s20, v12
	s_cselect_b32 s1, s3, s1
	s_cselect_b32 s2, s4, s2
	s_add_i32 s3, s1, 1
	s_cmp_ge_u32 s2, s0
	v_sub_nc_u16 v18, v18, v35
	s_cselect_b32 s33, s3, s1
	v_and_b32_e32 v47, 0xffff, v16
	s_mul_i32 s0, s33, s0
	v_sub_nc_u16 v19, v19, v36
	s_sub_i32 s2, s6, s0
	s_load_dwordx4 s[4:7], s[12:13], 0x0
	s_mul_hi_u32 s0, s2, 0xf0f0f0f1
	v_and_b32_e32 v49, 0xffff, v18
	s_lshr_b32 s0, s0, 4
	v_sub_nc_u16 v20, v20, v37
	s_mul_i32 s3, s0, 17
	s_lshl_b64 s[0:1], s[8:9], 3
	s_sub_i32 s60, s2, s3
	s_add_u32 s2, s12, s0
	s_addc_u32 s3, s13, s1
	v_lshlrev_b64 v[35:36], 4, v[27:28]
	s_load_dwordx2 s[2:3], s[2:3], 0x0
	v_mul_lo_u32 v27, s20, v13
	v_and_b32_e32 v50, 0xffff, v19
	v_and_b32_e32 v51, 0xffff, v20
	v_mul_lo_u16 v5, v97, 17
	v_sub_nc_u16 v109, v17, v4
	v_and_b32_e32 v17, 0xffff, v99
	v_lshrrev_b32_e32 v95, 16, v54
	v_mul_lo_u16 v29, v92, 17
	s_waitcnt lgkmcnt(0)
	v_mad_u64_u32 v[37:38], null, s4, v47, 0
	v_mad_u64_u32 v[39:40], null, s4, v49, 0
	v_lshlrev_b64 v[41:42], 4, v[27:28]
	v_mad_u64_u32 v[43:44], null, s4, v50, 0
	v_mad_u64_u32 v[45:46], null, s4, v51, 0
	v_mul_lo_u32 v27, s20, v14
	v_mad_u64_u32 v[47:48], null, s5, v47, v[38:39]
	s_mul_i32 s3, s3, s33
	s_mul_hi_u32 s7, s2, s33
	v_mad_u64_u32 v[48:49], null, s5, v49, v[40:41]
	s_add_i32 s3, s7, s3
	s_add_u32 s0, s14, s0
	s_addc_u32 s1, s15, s1
	v_mad_u64_u32 v[49:50], null, s5, v50, v[44:45]
	s_load_dwordx2 s[8:9], s[0:1], 0x0
	s_mul_i32 s2, s2, s33
	v_mov_b32_e32 v38, v47
	v_mad_u64_u32 v[50:51], null, s5, v51, v[46:47]
	s_lshl_b64 s[12:13], s[2:3], 4
	s_load_dwordx4 s[0:3], s[14:15], 0x0
	s_mul_i32 s10, s60, s6
	v_mov_b32_e32 v40, v48
	v_lshlrev_b64 v[37:38], 4, v[37:38]
	v_mov_b32_e32 v44, v49
	v_mov_b32_e32 v46, v50
	v_lshlrev_b64 v[51:52], 4, v[27:28]
	v_lshlrev_b64 v[39:40], 4, v[39:40]
	v_mul_lo_u16 v1, v93, 17
	v_lshlrev_b64 v[43:44], 4, v[43:44]
	v_lshlrev_b64 v[45:46], 4, v[45:46]
	v_mul_lo_u16 v2, v94, 17
	v_sub_nc_u16 v110, v21, v5
	v_and_b32_e32 v31, 0xffff, v100
	s_waitcnt lgkmcnt(0)
	s_mul_i32 s3, s9, s33
	s_mul_hi_u32 s6, s8, s33
	v_mul_lo_u16 v3, v95, 17
	s_add_i32 s7, s6, s3
	s_add_u32 s3, s16, s12
	s_addc_u32 s6, s17, s13
	s_lshl_b64 s[12:13], s[10:11], 4
	v_sub_nc_u16 v105, v8, v29
	s_add_u32 s3, s3, s12
	s_addc_u32 s6, s6, s13
	v_add_co_u32 v27, vcc_lo, s3, v37
	v_add_co_ci_u32_e32 v37, vcc_lo, s6, v38, vcc_lo
	v_add_co_u32 v38, vcc_lo, s3, v39
	v_add_co_ci_u32_e32 v39, vcc_lo, s6, v40, vcc_lo
	;; [unrolled: 2-line block ×5, first 2 shown]
	v_add_co_u32 v38, vcc_lo, v38, v35
	v_mul_lo_u16 v27, v91, 17
	v_add_co_ci_u32_e32 v39, vcc_lo, v39, v36, vcc_lo
	v_add_co_u32 v43, vcc_lo, v40, v41
	v_add_co_ci_u32_e32 v44, vcc_lo, v44, v42, vcc_lo
	v_add_co_u32 v46, vcc_lo, v45, v51
	v_sub_nc_u16 v104, v6, v27
	v_mul_lo_u16 v6, v98, 17
	v_add_co_ci_u32_e32 v47, vcc_lo, v47, v52, vcc_lo
	v_and_b32_e32 v52, 0xffff, v102
	s_clause 0x3
	global_load_dwordx4 v[34:37], v[33:34], off
	global_load_dwordx4 v[38:41], v[38:39], off
	;; [unrolled: 1-line block ×4, first 2 shown]
	v_sub_nc_u16 v111, v22, v6
	v_and_b32_e32 v33, 0xffff, v101
	v_mad_u64_u32 v[5:6], null, s4, v17, 0
	v_mad_u64_u32 v[21:22], null, s4, v52, 0
	v_sub_nc_u16 v106, v9, v1
	v_sub_nc_u16 v107, v10, v2
	v_mad_u64_u32 v[8:9], null, s4, v31, 0
	v_mad_u64_u32 v[10:11], null, s4, v33, 0
	v_and_b32_e32 v54, 0xffff, v103
	v_mad_u64_u32 v[29:30], null, s5, v17, v[6:7]
	v_and_b32_e32 v56, 0xffff, v104
	v_sub_nc_u16 v108, v15, v3
	v_mov_b32_e32 v15, v22
	v_mul_lo_u32 v27, s20, v86
	v_and_b32_e32 v57, 0xffff, v105
	v_mad_u64_u32 v[25:26], null, s4, v54, 0
	v_mad_u64_u32 v[30:31], null, s5, v31, v[9:10]
	;; [unrolled: 1-line block ×5, first 2 shown]
	v_mov_b32_e32 v6, v29
	v_mad_u64_u32 v[52:53], null, s4, v57, 0
	v_lshlrev_b64 v[1:2], 4, v[27:28]
	v_mul_lo_u32 v27, s20, v87
	v_mov_b32_e32 v9, v26
	v_lshlrev_b64 v[5:6], 4, v[5:6]
	v_mov_b32_e32 v15, v32
	v_mov_b32_e32 v11, v50
	;; [unrolled: 1-line block ×3, first 2 shown]
	v_mad_u64_u32 v[54:55], null, s5, v54, v[9:10]
	v_mov_b32_e32 v9, v30
	v_lshlrev_b64 v[3:4], 4, v[27:28]
	v_mul_lo_u32 v27, s20, v88
	v_mad_u64_u32 v[32:33], null, s5, v56, v[15:16]
	v_add_co_u32 v56, vcc_lo, s3, v5
	v_mov_b32_e32 v22, v51
	v_mad_u64_u32 v[50:51], null, s5, v57, v[17:18]
	v_add_co_ci_u32_e32 v57, vcc_lo, s6, v6, vcc_lo
	v_lshlrev_b64 v[5:6], 4, v[8:9]
	v_add_co_u32 v1, vcc_lo, v56, v1
	v_add_co_ci_u32_e32 v2, vcc_lo, v57, v2, vcc_lo
	v_lshlrev_b64 v[23:24], 4, v[27:28]
	v_mul_lo_u32 v27, s20, v89
	v_add_co_u32 v56, vcc_lo, s3, v5
	v_add_co_ci_u32_e32 v57, vcc_lo, s6, v6, vcc_lo
	v_lshlrev_b64 v[5:6], 4, v[10:11]
	v_add_co_u32 v10, vcc_lo, v56, v3
	v_add_co_ci_u32_e32 v11, vcc_lo, v57, v4, vcc_lo
	v_lshlrev_b64 v[29:30], 4, v[27:28]
	v_mul_lo_u32 v27, s20, v90
	v_add_co_u32 v56, vcc_lo, s3, v5
	v_add_co_ci_u32_e32 v57, vcc_lo, s6, v6, vcc_lo
	v_lshlrev_b64 v[5:6], 4, v[21:22]
	v_mov_b32_e32 v26, v54
	v_add_co_u32 v21, vcc_lo, v56, v23
	v_add_co_ci_u32_e32 v22, vcc_lo, v57, v24, vcc_lo
	v_lshlrev_b64 v[54:55], 4, v[27:28]
	v_mul_lo_u32 v27, s20, v91
	v_add_co_u32 v56, vcc_lo, s3, v5
	v_add_co_ci_u32_e32 v57, vcc_lo, s6, v6, vcc_lo
	v_lshlrev_b64 v[5:6], 4, v[25:26]
	v_add_co_u32 v25, vcc_lo, v56, v29
	v_add_co_ci_u32_e32 v26, vcc_lo, v57, v30, vcc_lo
	v_mov_b32_e32 v53, v50
	v_lshlrev_b64 v[29:30], 4, v[27:28]
	v_mul_lo_u32 v27, s20, v92
	v_add_co_u32 v56, vcc_lo, s3, v5
	v_add_co_ci_u32_e32 v57, vcc_lo, s6, v6, vcc_lo
	v_lshlrev_b64 v[5:6], 4, v[31:32]
	v_and_b32_e32 v58, 0xffff, v106
	v_and_b32_e32 v15, 0xffff, v107
	v_add_co_u32 v54, vcc_lo, v56, v54
	v_lshlrev_b64 v[52:53], 4, v[52:53]
	v_add_co_ci_u32_e32 v55, vcc_lo, v57, v55, vcc_lo
	v_mad_u64_u32 v[50:51], null, s4, v58, 0
	v_mad_u64_u32 v[8:9], null, s4, v15, 0
	v_lshlrev_b64 v[31:32], 4, v[27:28]
	v_add_co_u32 v27, vcc_lo, s3, v5
	v_add_co_ci_u32_e32 v6, vcc_lo, s6, v6, vcc_lo
	v_add_co_u32 v59, vcc_lo, s3, v52
	v_add_co_ci_u32_e32 v60, vcc_lo, s6, v53, vcc_lo
	v_add_co_u32 v56, vcc_lo, v27, v29
	v_and_b32_e32 v17, 0xffff, v108
	v_and_b32_e32 v33, 0xffff, v109
	v_mov_b32_e32 v5, v51
	v_add_co_ci_u32_e32 v57, vcc_lo, v6, v30, vcc_lo
	v_mov_b32_e32 v6, v9
	v_and_b32_e32 v61, 0xffff, v110
	v_mad_u64_u32 v[3:4], null, s4, v17, 0
	v_mad_u64_u32 v[23:24], null, s4, v33, 0
	;; [unrolled: 1-line block ×5, first 2 shown]
	v_mov_b32_e32 v6, v24
	v_add_co_u32 v58, vcc_lo, v59, v31
	v_mov_b32_e32 v51, v29
	v_mad_u64_u32 v[30:31], null, s5, v17, v[4:5]
	v_mov_b32_e32 v4, v53
	v_add_co_ci_u32_e32 v59, vcc_lo, v60, v32, vcc_lo
	v_mad_u64_u32 v[31:32], null, s5, v33, v[6:7]
	v_mul_lo_u32 v27, s20, v93
	v_mov_b32_e32 v9, v5
	v_mad_u64_u32 v[5:6], null, s5, v61, v[4:5]
	v_mov_b32_e32 v4, v30
	v_lshlrev_b64 v[29:30], 4, v[50:51]
	v_mov_b32_e32 v24, v31
	v_and_b32_e32 v17, 0xffff, v111
	v_lshlrev_b64 v[31:32], 4, v[27:28]
	v_mul_lo_u32 v27, s20, v94
	v_mov_b32_e32 v53, v5
	v_add_co_u32 v15, vcc_lo, s3, v29
	v_add_co_ci_u32_e32 v29, vcc_lo, s6, v30, vcc_lo
	v_lshlrev_b64 v[5:6], 4, v[8:9]
	v_add_co_u32 v62, vcc_lo, v15, v31
	v_add_co_ci_u32_e32 v63, vcc_lo, v29, v32, vcc_lo
	v_lshlrev_b64 v[8:9], 4, v[27:28]
	v_mul_lo_u32 v27, s20, v95
	v_add_co_u32 v5, vcc_lo, s3, v5
	v_add_co_ci_u32_e32 v6, vcc_lo, s6, v6, vcc_lo
	v_lshlrev_b64 v[3:4], 4, v[3:4]
	v_mad_u64_u32 v[60:61], null, s4, v17, 0
	v_add_co_u32 v5, vcc_lo, v5, v8
	v_add_co_ci_u32_e32 v6, vcc_lo, v6, v9, vcc_lo
	v_lshlrev_b64 v[8:9], 4, v[27:28]
	v_add_co_u32 v3, vcc_lo, s3, v3
	v_add_co_ci_u32_e32 v4, vcc_lo, s6, v4, vcc_lo
	v_mov_b32_e32 v15, v61
	v_mul_lo_u32 v27, s20, v96
	v_add_co_u32 v70, vcc_lo, v3, v8
	v_lshlrev_b64 v[29:30], 4, v[23:24]
	v_add_co_ci_u32_e32 v71, vcc_lo, v4, v9, vcc_lo
	s_clause 0x2
	global_load_dwordx4 v[1:4], v[1:2], off
	global_load_dwordx4 v[8:11], v[10:11], off
	;; [unrolled: 1-line block ×3, first 2 shown]
	v_mad_u64_u32 v[64:65], null, s5, v17, v[15:16]
	v_lshlrev_b64 v[50:51], 4, v[27:28]
	v_add_co_u32 v15, vcc_lo, s3, v29
	v_mul_lo_u32 v27, s20, v97
	v_add_co_ci_u32_e32 v17, vcc_lo, s6, v30, vcc_lo
	global_load_dwordx4 v[29:32], v[25:26], off
	v_mov_b32_e32 v61, v64
	v_add_co_u32 v25, vcc_lo, v15, v50
	v_lshlrev_b64 v[66:67], 4, v[52:53]
	v_add_co_ci_u32_e32 v26, vcc_lo, v17, v51, vcc_lo
	s_clause 0x1
	global_load_dwordx4 v[50:53], v[54:55], off
	global_load_dwordx4 v[54:57], v[56:57], off
	v_lshlrev_b64 v[74:75], 4, v[60:61]
	s_clause 0x1
	global_load_dwordx4 v[58:61], v[58:59], off
	global_load_dwordx4 v[62:65], v[62:63], off
	v_lshlrev_b64 v[72:73], 4, v[27:28]
	v_mul_lo_u32 v27, s20, v98
	v_add_co_u32 v15, vcc_lo, s3, v66
	v_add_co_ci_u32_e32 v17, vcc_lo, s6, v67, vcc_lo
	global_load_dwordx4 v[66:69], v[5:6], off
	s_mov_b32 s38, 0x5d8e7cdc
	s_mov_b32 s40, 0x370991
	v_lshlrev_b64 v[76:77], 4, v[27:28]
	v_add_co_u32 v27, vcc_lo, s3, v74
	v_add_co_ci_u32_e32 v33, vcc_lo, s6, v75, vcc_lo
	v_add_co_u32 v5, vcc_lo, v15, v72
	v_add_co_ci_u32_e32 v6, vcc_lo, v17, v73, vcc_lo
	;; [unrolled: 2-line block ×3, first 2 shown]
	s_clause 0x3
	global_load_dwordx4 v[70:73], v[70:71], off
	global_load_dwordx4 v[74:77], v[25:26], off
	;; [unrolled: 1-line block ×4, first 2 shown]
	v_mul_u32_u24_e32 v5, 0x223, v0
	v_mul_lo_u16 v6, 0x78, v16
	v_mad_u16 v15, 0x78, v101, v88
	v_mad_u16 v16, 0x78, v102, v89
	;; [unrolled: 1-line block ×3, first 2 shown]
	v_lshrrev_b32_e32 v33, 16, v5
	s_mov_b32 s39, 0xbfd71e95
	v_and_b32_e32 v15, 0xffff, v15
	s_mov_b32 s41, 0x3fedd6d0
	s_mov_b32 s24, 0x2a9d6da3
	v_mul_lo_u16 v5, 0x78, v33
	s_mov_b32 s25, 0xbfe58eea
	v_lshl_add_u32 v15, v15, 4, 0
	s_mov_b32 s43, 0x3fd71e95
	s_mov_b32 s42, s38
	v_sub_nc_u16 v0, v0, v5
	v_or_b32_e32 v5, v6, v7
	v_mad_u16 v6, 0x78, v18, v12
	v_mad_u16 v7, 0x78, v19, v13
	;; [unrolled: 1-line block ×5, first 2 shown]
	v_and_b32_e32 v5, 0xffff, v5
	v_and_b32_e32 v6, 0xffff, v6
	;; [unrolled: 1-line block ×6, first 2 shown]
	v_lshl_add_u32 v5, v5, 4, 0
	v_lshl_add_u32 v6, v6, 4, 0
	;; [unrolled: 1-line block ×5, first 2 shown]
	v_mad_u16 v18, 0x78, v104, v91
	v_lshl_add_u32 v14, v14, 4, 0
	s_mov_b32 s20, 0x7c9e640b
	s_mov_b32 s22, 0x2b2883cd
	;; [unrolled: 1-line block ×29, first 2 shown]
	s_mul_i32 s6, s8, s33
	s_mov_b32 s8, s48
	s_mov_b32 s54, 0x4363dd80
	;; [unrolled: 1-line block ×9, first 2 shown]
	s_lshl_b64 s[6:7], s[6:7], 4
	s_waitcnt vmcnt(16)
	ds_write_b128 v5, v[34:37]
	s_waitcnt vmcnt(15)
	ds_write_b128 v6, v[38:41]
	;; [unrolled: 2-line block ×6, first 2 shown]
	v_and_b32_e32 v1, 0xffff, v16
	v_mad_u16 v2, 0x78, v105, v92
	v_and_b32_e32 v35, 0xffff, v0
	v_mad_u16 v3, 0x78, v106, v93
	v_and_b32_e32 v4, 0xffff, v18
	v_lshl_add_u32 v0, v1, 4, 0
	v_and_b32_e32 v1, 0xffff, v17
	v_and_b32_e32 v2, 0xffff, v2
	s_waitcnt vmcnt(10)
	ds_write_b128 v15, v[21:24]
	s_load_dword s3, s[14:15], 0x10
	s_waitcnt vmcnt(9)
	ds_write_b128 v0, v[29:32]
	v_lshl_add_u32 v0, v1, 4, 0
	v_and_b32_e32 v1, 0xffff, v3
	v_lshl_add_u32 v3, v4, 4, 0
	v_mad_u16 v4, 0x78, v107, v94
	v_lshl_add_u32 v2, v2, 4, 0
	s_waitcnt vmcnt(8)
	ds_write_b128 v0, v[50:53]
	v_lshl_add_u32 v0, v1, 4, 0
	s_waitcnt vmcnt(7)
	ds_write_b128 v3, v[54:57]
	s_waitcnt vmcnt(6)
	ds_write_b128 v2, v[58:61]
	v_and_b32_e32 v1, 0xffff, v4
	v_mad_u16 v2, 0x78, v108, v95
	v_mad_u16 v4, 0x78, v111, v98
	s_waitcnt vmcnt(5)
	ds_write_b128 v0, v[62:65]
	v_mad_u16 v0, 0x78, v109, v96
	v_lshl_add_u32 v1, v1, 4, 0
	v_and_b32_e32 v2, 0xffff, v2
	v_mad_u16 v3, 0x78, v110, v97
	v_lshlrev_b32_e32 v5, 4, v35
	v_and_b32_e32 v0, 0xffff, v0
	s_waitcnt vmcnt(4)
	ds_write_b128 v1, v[66:69]
	v_lshl_add_u32 v1, v2, 4, 0
	v_and_b32_e32 v2, 0xffff, v4
	v_mul_u32_u24_e32 v4, 0x780, v33
	v_and_b32_e32 v3, 0xffff, v3
	v_lshl_add_u32 v0, v0, 4, 0
	v_mad_u64_u32 v[39:40], null, s0, v35, 0
	v_lshl_add_u32 v2, v2, 4, 0
	v_add3_u32 v34, 0, v4, v5
	v_lshl_add_u32 v3, v3, 4, 0
	s_waitcnt vmcnt(3)
	ds_write_b128 v1, v[70:73]
	s_waitcnt vmcnt(2)
	ds_write_b128 v0, v[74:77]
	;; [unrolled: 2-line block ×4, first 2 shown]
	s_waitcnt lgkmcnt(0)
	s_barrier
	buffer_gl0_inv
	ds_read_b128 v[0:3], v34
	ds_read_b128 v[20:23], v34 offset:1920
	ds_read_b128 v[24:27], v34 offset:3840
	;; [unrolled: 1-line block ×5, first 2 shown]
	v_mul_u32_u24_e32 v36, 17, v33
	v_mov_b32_e32 v33, v40
	s_mov_b32 s14, 0x75d4884
	s_mov_b32 s15, 0x3fe7a5f6
	s_mul_i32 s10, s60, s3
	s_waitcnt lgkmcnt(4)
	v_add_f64 v[4:5], v[0:1], v[20:21]
	v_add_f64 v[6:7], v[2:3], v[22:23]
	s_waitcnt lgkmcnt(3)
	v_add_f64 v[4:5], v[4:5], v[24:25]
	v_add_f64 v[6:7], v[6:7], v[26:27]
	;; [unrolled: 3-line block ×5, first 2 shown]
	ds_read_b128 v[4:7], v34 offset:11520
	ds_read_b128 v[65:68], v34 offset:13440
	;; [unrolled: 1-line block ×9, first 2 shown]
	s_waitcnt lgkmcnt(8)
	v_add_f64 v[29:30], v[29:30], v[4:5]
	v_add_f64 v[31:32], v[31:32], v[6:7]
	s_waitcnt lgkmcnt(4)
	v_add_f64 v[77:78], v[22:23], -v[85:86]
	v_add_f64 v[71:72], v[22:23], v[85:86]
	s_waitcnt lgkmcnt(3)
	v_add_f64 v[22:23], v[26:27], v[93:94]
	v_add_f64 v[75:76], v[20:21], v[83:84]
	v_add_f64 v[73:74], v[20:21], -v[83:84]
	v_mad_u64_u32 v[20:21], null, s1, v35, v[33:34]
	s_waitcnt lgkmcnt(0)
	v_add_f64 v[55:56], v[14:15], v[105:106]
	v_add_f64 v[61:62], v[14:15], -v[105:106]
	v_add_f64 v[57:58], v[16:17], v[95:96]
	v_add_f64 v[59:60], v[16:17], -v[95:96]
	;; [unrolled: 2-line block ×3, first 2 shown]
	v_mov_b32_e32 v40, v20
	v_add_f64 v[20:21], v[24:25], -v[91:92]
	v_add_f64 v[12:13], v[67:68], v[101:102]
	v_add_f64 v[14:15], v[67:68], -v[101:102]
	s_lshl_b64 s[0:1], s[10:11], 4
	v_lshlrev_b64 v[121:122], 4, v[39:40]
	v_add_f64 v[29:30], v[29:30], v[65:66]
	v_add_f64 v[31:32], v[31:32], v[67:68]
	s_add_u32 s0, s6, s0
	v_mul_f64 v[111:112], v[77:78], s[38:39]
	v_mul_f64 v[113:114], v[71:72], s[40:41]
	;; [unrolled: 1-line block ×13, first 2 shown]
	s_addc_u32 s1, s7, s1
	s_add_u32 s0, s0, s18
	s_addc_u32 s1, s1, s19
	v_mul_f64 v[189:190], v[14:15], s[26:27]
	v_mul_f64 v[191:192], v[12:13], s[22:23]
	v_add_f64 v[29:30], v[29:30], v[79:80]
	v_add_f64 v[31:32], v[31:32], v[81:82]
	v_fma_f64 v[45:46], v[73:74], s[42:43], v[113:114]
	v_fma_f64 v[129:130], v[20:21], s[28:29], v[117:118]
	;; [unrolled: 1-line block ×7, first 2 shown]
	v_fma_f64 v[131:132], v[75:76], s[22:23], -v[131:132]
	v_fma_f64 v[165:166], v[20:21], s[50:51], v[145:146]
	v_fma_f64 v[183:184], v[53:54], s[30:31], v[173:174]
	v_add_f64 v[41:42], v[29:30], v[87:88]
	v_add_f64 v[43:44], v[31:32], v[89:90]
	v_add_f64 v[29:30], v[26:27], -v[93:94]
	v_mul_lo_u32 v27, v36, s2
	ds_read_b128 v[107:110], v34 offset:23040
	ds_read_b128 v[35:38], v34 offset:21120
	v_add_f64 v[31:32], v[18:19], v[97:98]
	v_add_f64 v[33:34], v[18:19], -v[97:98]
	v_add_f64 v[18:19], v[24:25], v[91:92]
	v_fma_f64 v[24:25], v[75:76], s[40:41], v[111:112]
	v_add_f64 v[45:46], v[2:3], v[45:46]
	v_add_f64 v[139:140], v[2:3], v[139:140]
	;; [unrolled: 1-line block ×4, first 2 shown]
	v_lshlrev_b64 v[119:120], 4, v[27:28]
	v_add_co_u32 v26, vcc_lo, s0, v121
	v_fma_f64 v[111:112], v[75:76], s[40:41], -v[111:112]
	v_add_nc_u32_e32 v27, s2, v27
	v_add_f64 v[41:42], v[41:42], v[99:100]
	v_add_f64 v[43:44], v[43:44], v[101:102]
	v_mul_f64 v[115:116], v[29:30], s[24:25]
	s_waitcnt lgkmcnt(1)
	v_add_f64 v[49:50], v[10:11], v[109:110]
	v_add_f64 v[51:52], v[10:11], -v[109:110]
	v_mul_f64 v[127:128], v[31:32], s[22:23]
	v_mul_f64 v[10:11], v[33:34], s[20:21]
	s_waitcnt lgkmcnt(0)
	v_add_f64 v[16:17], v[6:7], v[37:38]
	v_add_f64 v[24:25], v[0:1], v[24:25]
	v_mul_f64 v[135:136], v[29:30], s[12:13]
	v_mul_f64 v[101:102], v[61:62], s[12:13]
	v_add_f64 v[45:46], v[129:130], v[45:46]
	v_mul_f64 v[129:130], v[29:30], s[44:45]
	v_mul_f64 v[161:162], v[31:32], s[52:53]
	v_add_f64 v[139:140], v[151:152], v[139:140]
	v_add_f64 v[147:148], v[165:166], v[147:148]
	v_fma_f64 v[165:166], v[47:48], s[52:53], v[157:158]
	v_add_f64 v[111:112], v[0:1], v[111:112]
	v_add_f64 v[39:40], v[41:42], v[35:36]
	;; [unrolled: 1-line block ×3, first 2 shown]
	v_fma_f64 v[69:70], v[18:19], s[14:15], v[115:116]
	v_add_f64 v[37:38], v[6:7], -v[37:38]
	v_fma_f64 v[6:7], v[75:76], s[14:15], v[123:124]
	v_add_f64 v[41:42], v[8:9], v[107:108]
	v_add_f64 v[43:44], v[8:9], -v[107:108]
	v_mul_f64 v[153:154], v[51:52], s[30:31]
	v_mul_f64 v[155:156], v[49:50], s[34:35]
	v_fma_f64 v[149:150], v[18:19], s[4:5], v[135:136]
	v_mul_f64 v[151:152], v[16:17], s[46:47]
	v_mul_f64 v[169:170], v[51:52], s[58:59]
	v_fma_f64 v[163:164], v[18:19], s[46:47], v[129:130]
	v_mul_f64 v[171:172], v[49:50], s[56:57]
	v_mul_f64 v[179:180], v[49:50], s[14:15]
	;; [unrolled: 1-line block ×3, first 2 shown]
	v_add_f64 v[8:9], v[39:40], v[107:108]
	v_add_f64 v[39:40], v[63:64], v[109:110]
	v_mul_f64 v[107:108], v[33:34], s[44:45]
	v_fma_f64 v[63:64], v[57:58], s[22:23], v[10:11]
	v_add_f64 v[67:68], v[69:70], v[24:25]
	v_fma_f64 v[69:70], v[59:60], s[26:27], v[127:128]
	v_add_f64 v[6:7], v[0:1], v[6:7]
	v_mul_f64 v[109:110], v[31:32], s[46:47]
	v_add_f64 v[24:25], v[4:5], v[35:36]
	v_add_f64 v[35:36], v[4:5], -v[35:36]
	v_mul_f64 v[175:176], v[37:38], s[36:37]
	v_mul_f64 v[193:194], v[37:38], s[38:39]
	v_add_f64 v[143:144], v[163:164], v[143:144]
	v_fma_f64 v[163:164], v[59:60], s[48:49], v[161:162]
	v_fma_f64 v[185:186], v[43:44], s[54:55], v[171:172]
	v_fma_f64 v[10:11], v[57:58], s[22:23], -v[10:11]
	v_add_f64 v[4:5], v[8:9], v[103:104]
	v_add_f64 v[8:9], v[39:40], v[105:106]
	v_mul_f64 v[103:104], v[33:34], s[8:9]
	v_fma_f64 v[105:106], v[47:48], s[4:5], v[101:102]
	v_add_f64 v[63:64], v[63:64], v[67:68]
	v_fma_f64 v[67:68], v[53:54], s[16:17], v[141:142]
	v_add_f64 v[69:70], v[69:70], v[45:46]
	;; [unrolled: 2-line block ×4, first 2 shown]
	v_add_f64 v[45:46], v[81:82], -v[89:90]
	v_mul_f64 v[89:90], v[37:38], s[44:45]
	v_fma_f64 v[81:82], v[41:42], s[34:35], v[153:154]
	v_add_f64 v[147:148], v[163:164], v[147:148]
	v_fma_f64 v[163:164], v[41:42], s[56:57], v[169:170]
	v_fma_f64 v[101:102], v[47:48], s[4:5], -v[101:102]
	v_fma_f64 v[107:108], v[57:58], s[46:47], -v[107:108]
	v_add_f64 v[4:5], v[4:5], v[95:96]
	v_add_f64 v[8:9], v[8:9], v[97:98]
	v_mul_f64 v[95:96], v[61:62], s[36:37]
	v_add_f64 v[97:98], v[105:106], v[63:64]
	v_fma_f64 v[105:106], v[43:44], s[36:37], v[155:156]
	v_add_f64 v[67:68], v[67:68], v[69:70]
	v_fma_f64 v[69:70], v[57:58], s[52:53], v[103:104]
	;; [unrolled: 2-line block ×3, first 2 shown]
	v_add_f64 v[139:140], v[149:150], v[139:140]
	v_add_f64 v[63:64], v[65:66], v[99:100]
	v_add_f64 v[65:66], v[65:66], -v[99:100]
	v_mul_f64 v[99:100], v[14:15], s[54:55]
	v_mul_f64 v[149:150], v[12:13], s[56:57]
	;; [unrolled: 1-line block ×3, first 2 shown]
	v_fma_f64 v[103:104], v[57:58], s[52:53], -v[103:104]
	v_add_f64 v[4:5], v[4:5], v[91:92]
	v_add_f64 v[8:9], v[8:9], v[93:94]
	v_mul_f64 v[91:92], v[51:52], s[28:29]
	v_fma_f64 v[93:94], v[24:25], s[46:47], v[89:90]
	v_add_f64 v[81:82], v[81:82], v[97:98]
	v_fma_f64 v[97:98], v[35:36], s[50:51], v[151:152]
	v_add_f64 v[105:106], v[105:106], v[67:68]
	;; [unrolled: 2-line block ×3, first 2 shown]
	v_add_f64 v[165:166], v[165:166], v[6:7]
	v_add_f64 v[139:140], v[167:168], v[139:140]
	v_add_f64 v[67:68], v[79:80], v[87:88]
	v_add_f64 v[69:70], v[79:80], -v[87:88]
	v_mul_f64 v[167:168], v[45:46], s[48:49]
	v_add_co_ci_u32_e32 v79, vcc_lo, s1, v122, vcc_lo
	v_add_co_u32 v119, vcc_lo, v26, v119
	v_mul_f64 v[121:122], v[14:15], s[12:13]
	v_add_co_ci_u32_e32 v120, vcc_lo, v79, v120, vcc_lo
	v_fma_f64 v[88:89], v[24:25], s[46:47], -v[89:90]
	v_add_f64 v[4:5], v[4:5], v[83:84]
	v_add_f64 v[6:7], v[8:9], v[85:86]
	v_fma_f64 v[8:9], v[63:64], s[56:57], v[99:100]
	v_fma_f64 v[86:87], v[24:25], s[34:35], v[175:176]
	v_add_f64 v[80:81], v[93:94], v[81:82]
	v_fma_f64 v[82:83], v[65:66], s[58:59], v[149:150]
	v_add_f64 v[84:85], v[97:98], v[105:106]
	v_mul_f64 v[93:94], v[16:17], s[40:41]
	v_add_f64 v[97:98], v[181:182], v[143:144]
	v_fma_f64 v[105:106], v[41:42], s[14:15], v[91:92]
	v_add_f64 v[143:144], v[183:184], v[147:148]
	v_fma_f64 v[147:148], v[43:44], s[24:25], v[179:180]
	;; [unrolled: 2-line block ×4, first 2 shown]
	v_fma_f64 v[183:184], v[63:64], s[22:23], v[189:190]
	v_mul_f64 v[185:186], v[45:46], s[54:55]
	v_fma_f64 v[95:96], v[47:48], s[34:35], -v[95:96]
	v_fma_f64 v[90:91], v[41:42], s[14:15], -v[91:92]
	global_store_dwordx4 v[119:120], v[4:7], off
	v_mul_f64 v[119:120], v[12:13], s[4:5]
	v_add_f64 v[8:9], v[8:9], v[80:81]
	v_fma_f64 v[80:81], v[67:68], s[52:53], v[167:168]
	v_add_f64 v[82:83], v[82:83], v[84:85]
	v_fma_f64 v[84:85], v[69:70], s[8:9], v[187:188]
	;; [unrolled: 2-line block ×3, first 2 shown]
	v_add_f64 v[143:144], v[147:148], v[143:144]
	v_mul_f64 v[147:148], v[45:46], s[42:43]
	v_add_f64 v[86:87], v[86:87], v[163:164]
	v_fma_f64 v[163:164], v[65:66], s[20:21], v[191:192]
	v_add_f64 v[139:140], v[165:166], v[139:140]
	v_mul_f64 v[165:166], v[39:40], s[40:41]
	v_fma_f64 v[92:93], v[35:36], s[38:39], v[93:94]
	v_add_f64 v[4:5], v[80:81], v[8:9]
	v_fma_f64 v[80:81], v[63:64], s[4:5], v[121:122]
	v_add_f64 v[6:7], v[84:85], v[82:83]
	;; [unrolled: 2-line block ×3, first 2 shown]
	v_mul_f64 v[8:9], v[39:40], s[56:57]
	v_add_f64 v[97:98], v[105:106], v[143:144]
	v_fma_f64 v[105:106], v[67:68], s[40:41], v[147:148]
	v_add_f64 v[86:87], v[183:184], v[86:87]
	v_fma_f64 v[181:182], v[67:68], s[56:57], v[185:186]
	;; [unrolled: 2-line block ×4, first 2 shown]
	v_add_f64 v[97:98], v[84:85], v[97:98]
	v_lshlrev_b64 v[84:85], 4, v[27:28]
	v_add_f64 v[80:81], v[105:106], v[86:87]
	v_fma_f64 v[105:106], v[73:74], s[38:39], v[113:114]
	v_fma_f64 v[113:114], v[18:19], s[14:15], -v[115:116]
	v_fma_f64 v[115:116], v[75:76], s[14:15], -v[123:124]
	v_fma_f64 v[123:124], v[73:74], s[24:25], v[125:126]
	v_add_co_u32 v125, vcc_lo, v26, v84
	v_add_nc_u32_e32 v27, s2, v27
	v_add_f64 v[82:83], v[143:144], v[139:140]
	v_add_co_ci_u32_e32 v126, vcc_lo, v79, v85, vcc_lo
	v_mul_f64 v[143:144], v[77:78], s[12:13]
	v_lshlrev_b64 v[139:140], 4, v[27:28]
	v_add_nc_u32_e32 v27, s2, v27
	global_store_dwordx4 v[125:126], v[4:7], off
	v_fma_f64 v[6:7], v[20:21], s[12:13], v[137:138]
	v_fma_f64 v[125:126], v[73:74], s[20:21], v[133:134]
	v_mul_f64 v[133:134], v[77:78], s[44:45]
	v_add_f64 v[84:85], v[181:182], v[163:164]
	v_add_co_u32 v139, vcc_lo, v26, v139
	v_add_f64 v[86:87], v[183:184], v[97:98]
	v_lshlrev_b64 v[97:98], 4, v[27:28]
	v_add_f64 v[105:106], v[2:3], v[105:106]
	v_add_f64 v[111:112], v[113:114], v[111:112]
	v_fma_f64 v[113:114], v[18:19], s[4:5], -v[135:136]
	v_add_f64 v[115:116], v[0:1], v[115:116]
	v_add_co_ci_u32_e32 v140, vcc_lo, v79, v140, vcc_lo
	v_add_co_u32 v97, vcc_lo, v26, v97
	v_add_co_ci_u32_e32 v98, vcc_lo, v79, v98, vcc_lo
	v_add_f64 v[4:5], v[2:3], v[123:124]
	global_store_dwordx4 v[139:140], v[80:83], off
	v_mul_f64 v[123:124], v[77:78], s[30:31]
	v_mul_f64 v[80:81], v[77:78], s[54:55]
	;; [unrolled: 1-line block ×5, first 2 shown]
	v_fma_f64 v[82:83], v[75:76], s[4:5], v[143:144]
	v_mul_f64 v[163:164], v[12:13], s[40:41]
	v_add_nc_u32_e32 v27, s2, v27
	global_store_dwordx4 v[97:98], v[84:87], off
	v_fma_f64 v[97:98], v[59:60], s[20:21], v[127:128]
	v_add_f64 v[86:87], v[117:118], v[105:106]
	v_add_f64 v[10:11], v[10:11], v[111:112]
	;; [unrolled: 1-line block ×4, first 2 shown]
	v_fma_f64 v[113:114], v[18:19], s[46:47], -v[129:130]
	v_fma_f64 v[115:116], v[20:21], s[44:45], v[145:146]
	v_mul_f64 v[127:128], v[71:72], s[4:5]
	v_mul_f64 v[131:132], v[71:72], s[34:35]
	;; [unrolled: 1-line block ×3, first 2 shown]
	v_fma_f64 v[84:85], v[75:76], s[4:5], -v[143:144]
	v_add_f64 v[4:5], v[6:7], v[4:5]
	v_fma_f64 v[6:7], v[59:60], s[44:45], v[109:110]
	v_add_f64 v[109:110], v[2:3], v[125:126]
	v_fma_f64 v[117:118], v[75:76], s[34:35], v[123:124]
	v_fma_f64 v[123:124], v[75:76], s[34:35], -v[123:124]
	v_fma_f64 v[125:126], v[75:76], s[46:47], v[133:134]
	v_fma_f64 v[129:130], v[75:76], s[46:47], -v[133:134]
	v_fma_f64 v[133:134], v[75:76], s[56:57], v[80:81]
	v_fma_f64 v[80:81], v[75:76], s[56:57], -v[80:81]
	v_fma_f64 v[139:140], v[75:76], s[52:53], v[77:78]
	v_fma_f64 v[75:76], v[75:76], s[52:53], -v[77:78]
	v_fma_f64 v[143:144], v[73:74], s[58:59], v[137:138]
	v_add_f64 v[86:87], v[97:98], v[86:87]
	v_add_f64 v[10:11], v[101:102], v[10:11]
	v_fma_f64 v[97:98], v[53:54], s[12:13], v[141:142]
	v_fma_f64 v[101:102], v[41:42], s[34:35], -v[153:154]
	v_add_f64 v[107:108], v[107:108], v[111:112]
	v_fma_f64 v[111:112], v[47:48], s[52:53], -v[157:158]
	v_add_f64 v[105:106], v[113:114], v[105:106]
	v_fma_f64 v[113:114], v[59:60], s[8:9], v[161:162]
	v_fma_f64 v[77:78], v[73:74], s[16:17], v[127:128]
	;; [unrolled: 1-line block ×4, first 2 shown]
	v_add_f64 v[4:5], v[6:7], v[4:5]
	v_fma_f64 v[6:7], v[53:54], s[48:49], v[159:160]
	v_add_f64 v[109:110], v[115:116], v[109:110]
	v_fma_f64 v[115:116], v[73:74], s[12:13], v[127:128]
	v_fma_f64 v[127:128], v[73:74], s[36:37], v[131:132]
	;; [unrolled: 1-line block ×4, first 2 shown]
	v_mul_f64 v[145:146], v[29:30], s[48:49]
	v_fma_f64 v[153:154], v[73:74], s[8:9], v[71:72]
	v_fma_f64 v[71:72], v[73:74], s[48:49], v[71:72]
	v_add_f64 v[82:83], v[0:1], v[82:83]
	v_add_f64 v[84:85], v[0:1], v[84:85]
	v_mul_f64 v[157:158], v[22:23], s[56:57]
	v_add_f64 v[73:74], v[97:98], v[86:87]
	v_add_f64 v[10:11], v[101:102], v[10:11]
	v_fma_f64 v[86:87], v[43:44], s[30:31], v[155:156]
	v_add_f64 v[97:98], v[111:112], v[107:108]
	v_fma_f64 v[101:102], v[41:42], s[56:57], -v[169:170]
	v_add_f64 v[103:104], v[103:104], v[105:106]
	v_fma_f64 v[107:108], v[53:54], s[36:37], v[173:174]
	v_add_f64 v[111:112], v[0:1], v[117:118]
	v_add_f64 v[77:78], v[2:3], v[77:78]
	v_mul_f64 v[155:156], v[29:30], s[58:59]
	v_add_f64 v[4:5], v[6:7], v[4:5]
	v_fma_f64 v[6:7], v[43:44], s[58:59], v[171:172]
	v_add_f64 v[105:106], v[113:114], v[109:110]
	v_add_f64 v[109:110], v[2:3], v[115:116]
	v_mul_f64 v[113:114], v[22:23], s[52:53]
	v_add_f64 v[115:116], v[2:3], v[127:128]
	v_fma_f64 v[117:118], v[18:19], s[52:53], v[145:146]
	v_mul_f64 v[127:128], v[33:34], s[36:37]
	v_add_f64 v[159:160], v[2:3], v[71:72]
	v_fma_f64 v[71:72], v[18:19], s[52:53], -v[145:146]
	v_add_f64 v[123:124], v[0:1], v[123:124]
	v_add_f64 v[131:132], v[2:3], v[131:132]
	v_add_f64 v[125:126], v[0:1], v[125:126]
	v_add_f64 v[10:11], v[88:89], v[10:11]
	v_add_f64 v[73:74], v[86:87], v[73:74]
	v_fma_f64 v[86:87], v[35:36], s[44:45], v[151:152]
	v_add_f64 v[97:98], v[101:102], v[97:98]
	v_fma_f64 v[101:102], v[24:25], s[34:35], -v[175:176]
	v_fma_f64 v[88:89], v[63:64], s[56:57], -v[99:100]
	v_add_f64 v[95:96], v[95:96], v[103:104]
	v_fma_f64 v[103:104], v[43:44], s[28:29], v[179:180]
	v_mul_f64 v[151:152], v[61:62], s[42:43]
	v_add_f64 v[133:134], v[0:1], v[133:134]
	v_add_f64 v[4:5], v[6:7], v[4:5]
	v_fma_f64 v[6:7], v[35:36], s[36:37], v[177:178]
	v_add_f64 v[99:100], v[107:108], v[105:106]
	v_add_f64 v[105:106], v[2:3], v[141:142]
	;; [unrolled: 1-line block ×4, first 2 shown]
	v_fma_f64 v[135:136], v[20:21], s[8:9], v[113:114]
	v_mul_f64 v[141:142], v[31:32], s[34:35]
	v_add_f64 v[82:83], v[117:118], v[82:83]
	v_fma_f64 v[117:118], v[57:58], s[34:35], v[127:128]
	v_fma_f64 v[113:114], v[20:21], s[48:49], v[113:114]
	v_add_f64 v[143:144], v[2:3], v[143:144]
	v_add_f64 v[80:81], v[0:1], v[80:81]
	;; [unrolled: 1-line block ×4, first 2 shown]
	v_fma_f64 v[86:87], v[65:66], s[54:55], v[149:150]
	v_add_f64 v[97:98], v[101:102], v[97:98]
	v_fma_f64 v[101:102], v[63:64], s[22:23], -v[189:190]
	v_add_f64 v[10:11], v[88:89], v[10:11]
	v_add_f64 v[88:89], v[90:91], v[95:96]
	v_fma_f64 v[95:96], v[24:25], s[40:41], -v[193:194]
	v_add_f64 v[139:140], v[0:1], v[139:140]
	v_mul_f64 v[149:150], v[51:52], s[20:21]
	v_add_f64 v[4:5], v[6:7], v[4:5]
	v_fma_f64 v[6:7], v[65:66], s[26:27], v[191:192]
	v_add_f64 v[90:91], v[103:104], v[99:100]
	v_fma_f64 v[99:100], v[67:68], s[52:53], -v[167:168]
	v_add_f64 v[153:154], v[2:3], v[153:154]
	v_add_f64 v[77:78], v[135:136], v[77:78]
	v_fma_f64 v[103:104], v[59:60], s[30:31], v[141:142]
	v_mul_f64 v[135:136], v[55:56], s[40:41]
	v_add_f64 v[82:83], v[117:118], v[82:83]
	v_fma_f64 v[117:118], v[47:48], s[40:41], v[151:152]
	v_add_f64 v[75:76], v[0:1], v[75:76]
	v_mul_f64 v[145:146], v[31:32], s[14:15]
	v_add_f64 v[71:72], v[71:72], v[84:85]
	v_add_f64 v[84:85], v[113:114], v[109:110]
	v_add_f64 v[73:74], v[86:87], v[73:74]
	v_fma_f64 v[86:87], v[69:70], s[48:49], v[187:188]
	v_add_f64 v[97:98], v[101:102], v[97:98]
	v_fma_f64 v[101:102], v[67:68], s[40:41], -v[147:148]
	v_fma_f64 v[109:110], v[59:60], s[36:37], v[141:142]
	v_add_f64 v[88:89], v[95:96], v[88:89]
	v_fma_f64 v[94:95], v[65:66], s[12:13], v[119:120]
	v_fma_f64 v[119:120], v[20:21], s[54:55], v[157:158]
	;; [unrolled: 1-line block ×3, first 2 shown]
	v_add_f64 v[6:7], v[6:7], v[4:5]
	v_add_f64 v[90:91], v[92:93], v[90:91]
	v_fma_f64 v[92:93], v[63:64], s[4:5], -v[121:122]
	v_add_f64 v[0:1], v[99:100], v[10:11]
	v_mul_f64 v[121:122], v[33:34], s[28:29]
	v_add_f64 v[77:78], v[103:104], v[77:78]
	v_fma_f64 v[103:104], v[53:54], s[38:39], v[135:136]
	v_mul_f64 v[99:100], v[49:50], s[22:23]
	v_add_f64 v[10:11], v[117:118], v[82:83]
	v_fma_f64 v[117:118], v[18:19], s[56:57], v[155:156]
	v_fma_f64 v[82:83], v[41:42], s[22:23], v[149:150]
	v_mul_f64 v[141:142], v[16:17], s[56:57]
	v_mul_f64 v[161:162], v[16:17], s[4:5]
	v_mul_f64 v[165:166], v[16:17], s[14:15]
	v_add_f64 v[2:3], v[86:87], v[73:74]
	v_fma_f64 v[73:74], v[18:19], s[56:57], -v[155:156]
	v_add_f64 v[4:5], v[101:102], v[97:98]
	v_fma_f64 v[86:87], v[20:21], s[58:59], v[157:158]
	v_fma_f64 v[101:102], v[57:58], s[34:35], -v[127:128]
	v_mul_f64 v[127:128], v[55:56], s[22:23]
	v_add_f64 v[113:114], v[119:120], v[115:116]
	v_mul_f64 v[119:120], v[61:62], s[20:21]
	v_add_f64 v[84:85], v[109:110], v[84:85]
	v_add_f64 v[90:91], v[94:95], v[90:91]
	;; [unrolled: 1-line block ×3, first 2 shown]
	v_fma_f64 v[92:93], v[67:68], s[56:57], -v[185:186]
	v_mul_f64 v[94:95], v[29:30], s[36:37]
	v_fma_f64 v[115:116], v[57:58], s[14:15], v[121:122]
	v_add_f64 v[77:78], v[103:104], v[77:78]
	v_mul_f64 v[103:104], v[22:23], s[34:35]
	v_fma_f64 v[121:122], v[57:58], s[14:15], -v[121:122]
	v_add_f64 v[111:112], v[117:118], v[111:112]
	v_fma_f64 v[117:118], v[59:60], s[24:25], v[145:146]
	v_fma_f64 v[109:110], v[53:54], s[42:43], v[135:136]
	v_add_f64 v[6:7], v[147:148], v[6:7]
	v_mul_f64 v[96:97], v[37:38], s[54:55]
	v_add_f64 v[10:11], v[82:83], v[10:11]
	v_add_f64 v[73:74], v[73:74], v[123:124]
	v_fma_f64 v[123:124], v[59:60], s[28:29], v[145:146]
	v_add_f64 v[86:87], v[86:87], v[131:132]
	v_add_f64 v[71:72], v[101:102], v[71:72]
	v_fma_f64 v[101:102], v[47:48], s[40:41], -v[151:152]
	v_fma_f64 v[82:83], v[43:44], s[26:27], v[99:100]
	v_fma_f64 v[135:136], v[69:70], s[54:55], v[8:9]
	v_mul_f64 v[145:146], v[33:34], s[38:39]
	v_mul_f64 v[147:148], v[31:32], s[40:41]
	;; [unrolled: 1-line block ×3, first 2 shown]
	v_add_f64 v[8:9], v[92:93], v[88:89]
	v_fma_f64 v[88:89], v[18:19], s[34:35], v[94:95]
	v_mul_f64 v[155:156], v[49:50], s[52:53]
	v_fma_f64 v[98:99], v[43:44], s[20:21], v[99:100]
	v_fma_f64 v[92:93], v[20:21], s[30:31], v[103:104]
	v_mul_f64 v[157:158], v[37:38], s[16:17]
	v_add_f64 v[111:112], v[115:116], v[111:112]
	v_add_f64 v[113:114], v[117:118], v[113:114]
	v_fma_f64 v[115:116], v[47:48], s[22:23], v[119:120]
	v_fma_f64 v[117:118], v[53:54], s[26:27], v[127:128]
	v_fma_f64 v[119:120], v[47:48], s[22:23], -v[119:120]
	v_add_f64 v[84:85], v[109:110], v[84:85]
	v_add_f64 v[73:74], v[121:122], v[73:74]
	v_fma_f64 v[121:122], v[53:54], s[20:21], v[127:128]
	v_add_f64 v[86:87], v[123:124], v[86:87]
	v_fma_f64 v[131:132], v[24:25], s[56:57], v[96:97]
	v_add_f64 v[71:72], v[101:102], v[71:72]
	v_fma_f64 v[101:102], v[41:42], s[22:23], -v[149:150]
	v_add_f64 v[77:78], v[82:83], v[77:78]
	v_mul_f64 v[82:83], v[14:15], s[50:51]
	v_fma_f64 v[123:124], v[35:36], s[58:59], v[141:142]
	v_fma_f64 v[109:110], v[59:60], s[42:43], v[147:148]
	v_mul_f64 v[127:128], v[55:56], s[56:57]
	v_add_f64 v[88:89], v[88:89], v[125:126]
	v_mul_f64 v[149:150], v[12:13], s[46:47]
	v_fma_f64 v[96:97], v[24:25], s[56:57], -v[96:97]
	v_add_f64 v[92:93], v[92:93], v[105:106]
	v_fma_f64 v[105:106], v[57:58], s[40:41], v[145:146]
	v_mul_f64 v[125:126], v[61:62], s[54:55]
	v_mul_f64 v[171:172], v[45:46], s[26:27]
	v_add_f64 v[111:112], v[115:116], v[111:112]
	v_add_f64 v[113:114], v[117:118], v[113:114]
	v_fma_f64 v[115:116], v[41:42], s[52:53], v[151:152]
	v_fma_f64 v[117:118], v[43:44], s[8:9], v[155:156]
	v_add_f64 v[73:74], v[119:120], v[73:74]
	v_fma_f64 v[119:120], v[41:42], s[52:53], -v[151:152]
	v_add_f64 v[86:87], v[121:122], v[86:87]
	v_fma_f64 v[121:122], v[43:44], s[48:49], v[155:156]
	v_add_f64 v[84:85], v[98:99], v[84:85]
	v_add_f64 v[71:72], v[101:102], v[71:72]
	v_fma_f64 v[98:99], v[35:36], s[54:55], v[141:142]
	v_add_f64 v[10:11], v[131:132], v[10:11]
	v_fma_f64 v[131:132], v[63:64], s[46:47], v[82:83]
	v_add_f64 v[77:78], v[123:124], v[77:78]
	v_mul_f64 v[123:124], v[45:46], s[28:29]
	v_mul_f64 v[141:142], v[49:50], s[4:5]
	;; [unrolled: 1-line block ×3, first 2 shown]
	v_fma_f64 v[82:83], v[63:64], s[46:47], -v[82:83]
	v_add_f64 v[92:93], v[109:110], v[92:93]
	v_add_f64 v[88:89], v[105:106], v[88:89]
	v_fma_f64 v[105:106], v[53:54], s[58:59], v[127:128]
	v_fma_f64 v[151:152], v[65:66], s[44:45], v[149:150]
	;; [unrolled: 1-line block ×3, first 2 shown]
	v_mul_f64 v[109:110], v[51:52], s[16:17]
	v_add_f64 v[111:112], v[115:116], v[111:112]
	v_add_f64 v[113:114], v[117:118], v[113:114]
	v_fma_f64 v[115:116], v[24:25], s[4:5], v[157:158]
	v_fma_f64 v[117:118], v[35:36], s[12:13], v[161:162]
	v_add_f64 v[73:74], v[119:120], v[73:74]
	v_add_f64 v[86:87], v[121:122], v[86:87]
	v_fma_f64 v[119:120], v[24:25], s[4:5], -v[157:158]
	v_fma_f64 v[121:122], v[35:36], s[16:17], v[161:162]
	v_add_f64 v[96:97], v[96:97], v[71:72]
	v_add_f64 v[84:85], v[98:99], v[84:85]
	v_fma_f64 v[98:99], v[65:66], s[50:51], v[149:150]
	v_add_f64 v[131:132], v[131:132], v[10:11]
	v_fma_f64 v[157:158], v[67:68], s[14:15], v[123:124]
	v_mul_f64 v[161:162], v[39:40], s[14:15]
	v_add_f64 v[10:11], v[135:136], v[90:91]
	v_mul_f64 v[135:136], v[39:40], s[46:47]
	v_mul_f64 v[149:150], v[37:38], s[24:25]
	;; [unrolled: 1-line block ×3, first 2 shown]
	v_add_f64 v[92:93], v[105:106], v[92:93]
	v_fma_f64 v[105:106], v[43:44], s[12:13], v[141:142]
	v_add_f64 v[77:78], v[151:152], v[77:78]
	v_add_f64 v[88:89], v[100:101], v[88:89]
	v_fma_f64 v[100:101], v[41:42], s[4:5], v[109:110]
	v_fma_f64 v[123:124], v[67:68], s[14:15], -v[123:124]
	v_add_f64 v[90:91], v[115:116], v[111:112]
	v_add_f64 v[111:112], v[117:118], v[113:114]
	v_fma_f64 v[113:114], v[63:64], s[40:41], v[155:156]
	v_fma_f64 v[115:116], v[65:66], s[42:43], v[163:164]
	v_mul_f64 v[117:118], v[45:46], s[44:45]
	v_add_f64 v[73:74], v[119:120], v[73:74]
	v_add_f64 v[86:87], v[121:122], v[86:87]
	v_fma_f64 v[119:120], v[63:64], s[40:41], -v[155:156]
	v_fma_f64 v[121:122], v[65:66], s[38:39], v[163:164]
	v_add_f64 v[82:83], v[82:83], v[96:97]
	v_add_f64 v[84:85], v[98:99], v[84:85]
	v_mul_f64 v[96:97], v[29:30], s[26:27]
	v_mul_f64 v[98:99], v[22:23], s[22:23]
	;; [unrolled: 1-line block ×4, first 2 shown]
	v_add_f64 v[71:72], v[157:158], v[131:132]
	v_fma_f64 v[131:132], v[69:70], s[24:25], v[161:162]
	v_add_f64 v[92:93], v[105:106], v[92:93]
	v_fma_f64 v[105:106], v[35:36], s[28:29], v[165:166]
	v_fma_f64 v[151:152], v[69:70], s[28:29], v[161:162]
	v_mul_f64 v[161:162], v[33:34], s[12:13]
	v_mul_f64 v[163:164], v[31:32], s[4:5]
	;; [unrolled: 1-line block ×4, first 2 shown]
	v_add_f64 v[90:91], v[113:114], v[90:91]
	v_add_f64 v[111:112], v[115:116], v[111:112]
	v_fma_f64 v[113:114], v[67:68], s[46:47], v[117:118]
	v_fma_f64 v[115:116], v[69:70], s[50:51], v[135:136]
	v_add_f64 v[88:89], v[100:101], v[88:89]
	v_add_f64 v[119:120], v[119:120], v[73:74]
	v_add_f64 v[86:87], v[121:122], v[86:87]
	v_fma_f64 v[73:74], v[18:19], s[34:35], -v[94:95]
	v_fma_f64 v[94:95], v[20:21], s[36:37], v[103:104]
	v_fma_f64 v[102:103], v[67:68], s[46:47], -v[117:118]
	v_fma_f64 v[117:118], v[69:70], s[44:45], v[135:136]
	v_fma_f64 v[121:122], v[18:19], s[22:23], v[96:97]
	;; [unrolled: 1-line block ×3, first 2 shown]
	v_fma_f64 v[96:97], v[18:19], s[22:23], -v[96:97]
	v_fma_f64 v[98:99], v[20:21], s[26:27], v[98:99]
	v_fma_f64 v[167:168], v[18:19], s[40:41], v[29:30]
	;; [unrolled: 1-line block ×3, first 2 shown]
	v_fma_f64 v[18:19], v[18:19], s[40:41], -v[29:30]
	v_fma_f64 v[20:21], v[20:21], s[42:43], v[22:23]
	v_add_f64 v[92:93], v[105:106], v[92:93]
	v_fma_f64 v[100:101], v[24:25], s[14:15], v[149:150]
	v_mul_f64 v[155:156], v[14:15], s[48:49]
	v_mul_f64 v[157:158], v[12:13], s[52:53]
	v_add_f64 v[22:23], v[73:74], v[107:108]
	v_add_f64 v[29:30], v[94:95], v[129:130]
	v_fma_f64 v[73:74], v[57:58], s[40:41], -v[145:146]
	v_fma_f64 v[94:95], v[59:60], s[38:39], v[147:148]
	v_add_f64 v[106:107], v[121:122], v[133:134]
	v_add_f64 v[121:122], v[135:136], v[143:144]
	v_fma_f64 v[129:130], v[57:58], s[4:5], v[161:162]
	v_fma_f64 v[133:134], v[59:60], s[16:17], v[163:164]
	v_mul_f64 v[135:136], v[61:62], s[50:51]
	v_mul_f64 v[143:144], v[55:56], s[46:47]
	v_add_f64 v[80:81], v[96:97], v[80:81]
	v_add_f64 v[96:97], v[98:99], v[137:138]
	v_fma_f64 v[98:99], v[57:58], s[4:5], -v[161:162]
	v_fma_f64 v[137:138], v[59:60], s[12:13], v[163:164]
	v_add_f64 v[139:140], v[167:168], v[139:140]
	v_fma_f64 v[147:148], v[57:58], s[56:57], v[33:34]
	v_mul_f64 v[61:62], v[61:62], s[28:29]
	v_add_f64 v[145:146], v[169:170], v[153:154]
	v_fma_f64 v[153:154], v[59:60], s[58:59], v[31:32]
	v_mul_f64 v[55:56], v[55:56], s[14:15]
	v_add_f64 v[18:19], v[18:19], v[75:76]
	v_add_f64 v[20:21], v[20:21], v[159:160]
	v_fma_f64 v[33:34], v[57:58], s[56:57], -v[33:34]
	v_fma_f64 v[31:32], v[59:60], s[54:55], v[31:32]
	v_add_f64 v[22:23], v[73:74], v[22:23]
	v_add_f64 v[29:30], v[94:95], v[29:30]
	v_fma_f64 v[57:58], v[47:48], s[56:57], -v[125:126]
	v_fma_f64 v[59:60], v[53:54], s[54:55], v[127:128]
	v_add_f64 v[73:74], v[129:130], v[106:107]
	v_add_f64 v[75:76], v[133:134], v[121:122]
	v_fma_f64 v[94:95], v[47:48], s[46:47], v[135:136]
	v_fma_f64 v[106:107], v[53:54], s[44:45], v[143:144]
	v_mul_f64 v[125:126], v[49:50], s[40:41]
	v_fma_f64 v[127:128], v[53:54], s[50:51], v[143:144]
	v_add_f64 v[80:81], v[98:99], v[80:81]
	v_add_f64 v[96:97], v[137:138], v[96:97]
	v_fma_f64 v[98:99], v[47:48], s[46:47], -v[135:136]
	v_mul_f64 v[121:122], v[51:52], s[38:39]
	v_add_f64 v[129:130], v[147:148], v[139:140]
	v_fma_f64 v[135:136], v[47:48], s[14:15], v[61:62]
	v_mul_f64 v[51:52], v[51:52], s[44:45]
	v_add_f64 v[133:134], v[153:154], v[145:146]
	v_fma_f64 v[137:138], v[53:54], s[24:25], v[55:56]
	v_mul_f64 v[49:50], v[49:50], s[46:47]
	v_add_f64 v[18:19], v[33:34], v[18:19]
	v_add_f64 v[20:21], v[31:32], v[20:21]
	v_fma_f64 v[31:32], v[47:48], s[14:15], -v[61:62]
	v_fma_f64 v[33:34], v[53:54], s[28:29], v[55:56]
	v_add_f64 v[22:23], v[57:58], v[22:23]
	v_add_f64 v[29:30], v[59:60], v[29:30]
	v_fma_f64 v[53:54], v[43:44], s[16:17], v[141:142]
	v_fma_f64 v[47:48], v[41:42], s[4:5], -v[109:110]
	v_add_f64 v[55:56], v[94:95], v[73:74]
	v_add_f64 v[57:58], v[106:107], v[75:76]
	v_fma_f64 v[61:62], v[43:44], s[42:43], v[125:126]
	v_mul_f64 v[75:76], v[16:17], s[52:53]
	v_mul_f64 v[73:74], v[37:38], s[48:49]
	v_add_f64 v[94:95], v[127:128], v[96:97]
	v_add_f64 v[80:81], v[98:99], v[80:81]
	v_fma_f64 v[98:99], v[43:44], s[38:39], v[125:126]
	v_fma_f64 v[59:60], v[41:42], s[40:41], v[121:122]
	v_fma_f64 v[96:97], v[41:42], s[40:41], -v[121:122]
	v_add_f64 v[106:107], v[135:136], v[129:130]
	v_fma_f64 v[121:122], v[41:42], s[46:47], v[51:52]
	v_mul_f64 v[37:38], v[37:38], s[26:27]
	v_add_f64 v[108:109], v[137:138], v[133:134]
	v_fma_f64 v[125:126], v[43:44], s[50:51], v[49:50]
	v_mul_f64 v[16:17], v[16:17], s[22:23]
	v_add_f64 v[18:19], v[31:32], v[18:19]
	v_fma_f64 v[31:32], v[41:42], s[46:47], -v[51:52]
	v_add_f64 v[20:21], v[33:34], v[20:21]
	v_fma_f64 v[33:34], v[43:44], s[44:45], v[49:50]
	v_add_f64 v[29:30], v[53:54], v[29:30]
	v_fma_f64 v[43:44], v[35:36], s[24:25], v[165:166]
	v_add_f64 v[22:23], v[47:48], v[22:23]
	v_fma_f64 v[41:42], v[24:25], s[14:15], -v[149:150]
	v_add_f64 v[49:50], v[61:62], v[57:58]
	v_fma_f64 v[53:54], v[35:36], s[8:9], v[75:76]
	v_mul_f64 v[57:58], v[12:13], s[14:15]
	v_fma_f64 v[75:76], v[35:36], s[48:49], v[75:76]
	v_fma_f64 v[51:52], v[24:25], s[52:53], v[73:74]
	v_add_f64 v[61:62], v[98:99], v[94:95]
	v_add_f64 v[47:48], v[59:60], v[55:56]
	v_mul_f64 v[55:56], v[14:15], s[28:29]
	v_add_f64 v[59:60], v[96:97], v[80:81]
	v_fma_f64 v[73:74], v[24:25], s[52:53], -v[73:74]
	v_add_f64 v[80:81], v[121:122], v[106:107]
	v_fma_f64 v[96:97], v[24:25], s[22:23], v[37:38]
	v_mul_f64 v[14:15], v[14:15], s[30:31]
	v_add_f64 v[94:95], v[125:126], v[108:109]
	v_fma_f64 v[98:99], v[35:36], s[20:21], v[16:17]
	v_mul_f64 v[12:13], v[12:13], s[34:35]
	v_add_f64 v[88:89], v[100:101], v[88:89]
	v_fma_f64 v[100:101], v[63:64], s[52:53], v[155:156]
	v_add_f64 v[18:19], v[31:32], v[18:19]
	v_fma_f64 v[24:25], v[24:25], s[22:23], -v[37:38]
	v_add_f64 v[20:21], v[33:34], v[20:21]
	v_fma_f64 v[16:17], v[35:36], s[26:27], v[16:17]
	v_fma_f64 v[104:105], v[65:66], s[8:9], v[157:158]
	v_add_f64 v[29:30], v[43:44], v[29:30]
	v_add_f64 v[37:38], v[53:54], v[49:50]
	v_fma_f64 v[43:44], v[65:66], s[24:25], v[57:58]
	v_mul_f64 v[49:50], v[39:40], s[34:35]
	v_add_f64 v[53:54], v[75:76], v[61:62]
	v_fma_f64 v[57:58], v[65:66], s[28:29], v[57:58]
	v_add_f64 v[22:23], v[41:42], v[22:23]
	v_add_f64 v[35:36], v[51:52], v[47:48]
	v_fma_f64 v[41:42], v[63:64], s[14:15], v[55:56]
	v_mul_f64 v[47:48], v[45:46], s[30:31]
	v_add_f64 v[51:52], v[73:74], v[59:60]
	v_fma_f64 v[55:56], v[63:64], s[14:15], -v[55:56]
	v_add_f64 v[59:60], v[96:97], v[80:81]
	v_fma_f64 v[73:74], v[63:64], s[34:35], v[14:15]
	v_mul_f64 v[45:46], v[45:46], s[16:17]
	v_add_f64 v[61:62], v[98:99], v[94:95]
	v_fma_f64 v[75:76], v[65:66], s[36:37], v[12:13]
	v_mul_f64 v[39:40], v[39:40], s[4:5]
	v_fma_f64 v[33:34], v[65:66], s[48:49], v[157:158]
	v_add_f64 v[18:19], v[24:25], v[18:19]
	v_fma_f64 v[12:13], v[65:66], s[30:31], v[12:13]
	v_add_f64 v[24:25], v[100:101], v[88:89]
	;; [unrolled: 2-line block ×3, first 2 shown]
	v_fma_f64 v[14:15], v[63:64], s[34:35], -v[14:15]
	v_fma_f64 v[31:32], v[63:64], s[52:53], -v[155:156]
	v_add_f64 v[63:64], v[104:105], v[92:93]
	v_fma_f64 v[80:81], v[69:70], s[20:21], v[173:174]
	v_add_f64 v[43:44], v[43:44], v[37:38]
	v_fma_f64 v[96:97], v[69:70], s[36:37], v[49:50]
	;; [unrolled: 2-line block ×4, first 2 shown]
	v_add_f64 v[51:52], v[55:56], v[51:52]
	v_add_f64 v[55:56], v[73:74], v[59:60]
	v_fma_f64 v[59:60], v[67:68], s[4:5], v[45:46]
	v_fma_f64 v[47:48], v[67:68], s[34:35], -v[47:48]
	v_add_f64 v[57:58], v[75:76], v[61:62]
	v_fma_f64 v[61:62], v[69:70], s[12:13], v[39:40]
	v_add_f64 v[92:93], v[33:34], v[29:30]
	v_fma_f64 v[33:34], v[67:68], s[22:23], -v[171:172]
	v_fma_f64 v[94:95], v[69:70], s[26:27], v[173:174]
	v_fma_f64 v[67:68], v[67:68], s[4:5], -v[45:46]
	v_add_f64 v[29:30], v[65:66], v[24:25]
	v_lshlrev_b64 v[24:25], 4, v[27:28]
	v_add_nc_u32_e32 v27, s2, v27
	v_add_f64 v[75:76], v[14:15], v[18:19]
	v_add_f64 v[98:99], v[12:13], v[16:17]
	v_fma_f64 v[69:70], v[69:70], s[16:17], v[39:40]
	v_add_f64 v[73:74], v[131:132], v[77:78]
	v_add_f64 v[88:89], v[31:32], v[22:23]
	;; [unrolled: 1-line block ×7, first 2 shown]
	v_lshlrev_b64 v[53:54], 4, v[27:28]
	v_add_nc_u32_e32 v27, s2, v27
	v_add_f64 v[37:38], v[37:38], v[41:42]
	v_add_f64 v[45:46], v[59:60], v[55:56]
	v_add_co_u32 v24, vcc_lo, v26, v24
	v_lshlrev_b64 v[55:56], 4, v[27:28]
	v_add_nc_u32_e32 v27, s2, v27
	v_add_co_ci_u32_e32 v25, vcc_lo, v79, v25, vcc_lo
	v_add_f64 v[41:42], v[47:48], v[51:52]
	v_add_f64 v[47:48], v[61:62], v[57:58]
	v_add_co_u32 v53, vcc_lo, v26, v53
	v_lshlrev_b64 v[57:58], 4, v[27:28]
	v_add_nc_u32_e32 v27, s2, v27
	v_add_co_ci_u32_e32 v54, vcc_lo, v79, v54, vcc_lo
	v_add_co_u32 v55, vcc_lo, v26, v55
	v_add_co_ci_u32_e32 v56, vcc_lo, v79, v56, vcc_lo
	v_lshlrev_b64 v[59:60], 4, v[27:28]
	v_add_nc_u32_e32 v27, s2, v27
	v_add_co_u32 v57, vcc_lo, v26, v57
	v_add_co_ci_u32_e32 v58, vcc_lo, v79, v58, vcc_lo
	v_add_f64 v[49:50], v[67:68], v[75:76]
	v_add_f64 v[51:52], v[69:70], v[98:99]
	global_store_dwordx4 v[24:25], v[71:74], off
	global_store_dwordx4 v[53:54], v[16:19], off
	;; [unrolled: 1-line block ×4, first 2 shown]
	v_lshlrev_b64 v[16:17], 4, v[27:28]
	v_add_nc_u32_e32 v27, s2, v27
	v_add_f64 v[33:34], v[33:34], v[88:89]
	v_add_f64 v[35:36], v[94:95], v[92:93]
	v_add_co_u32 v18, vcc_lo, v26, v59
	v_lshlrev_b64 v[24:25], 4, v[27:28]
	v_add_nc_u32_e32 v27, s2, v27
	v_add_co_ci_u32_e32 v19, vcc_lo, v79, v60, vcc_lo
	v_add_co_u32 v16, vcc_lo, v26, v16
	v_lshlrev_b64 v[29:30], 4, v[27:28]
	v_add_nc_u32_e32 v27, s2, v27
	v_add_co_ci_u32_e32 v17, vcc_lo, v79, v17, vcc_lo
	v_add_co_u32 v24, vcc_lo, v26, v24
	v_add_co_ci_u32_e32 v25, vcc_lo, v79, v25, vcc_lo
	v_lshlrev_b64 v[31:32], 4, v[27:28]
	v_add_nc_u32_e32 v27, s2, v27
	v_add_co_u32 v29, vcc_lo, v26, v29
	v_add_co_ci_u32_e32 v30, vcc_lo, v79, v30, vcc_lo
	global_store_dwordx4 v[18:19], v[45:48], off
	global_store_dwordx4 v[16:17], v[49:52], off
	;; [unrolled: 1-line block ×4, first 2 shown]
	v_lshlrev_b64 v[16:17], 4, v[27:28]
	v_add_nc_u32_e32 v27, s2, v27
	v_add_f64 v[20:21], v[102:103], v[119:120]
	v_add_f64 v[22:23], v[117:118], v[86:87]
	;; [unrolled: 1-line block ×4, first 2 shown]
	v_lshlrev_b64 v[24:25], 4, v[27:28]
	v_add_nc_u32_e32 v27, s2, v27
	v_add_co_u32 v18, vcc_lo, v26, v31
	v_add_co_ci_u32_e32 v19, vcc_lo, v79, v32, vcc_lo
	v_lshlrev_b64 v[29:30], 4, v[27:28]
	v_add_nc_u32_e32 v27, s2, v27
	v_add_co_u32 v16, vcc_lo, v26, v16
	v_add_co_ci_u32_e32 v17, vcc_lo, v79, v17, vcc_lo
	v_add_co_u32 v24, vcc_lo, v26, v24
	v_lshlrev_b64 v[27:28], 4, v[27:28]
	v_add_co_ci_u32_e32 v25, vcc_lo, v79, v25, vcc_lo
	v_add_co_u32 v29, vcc_lo, v26, v29
	v_add_co_ci_u32_e32 v30, vcc_lo, v79, v30, vcc_lo
	v_add_co_u32 v26, vcc_lo, v26, v27
	v_add_co_ci_u32_e32 v27, vcc_lo, v79, v28, vcc_lo
	global_store_dwordx4 v[18:19], v[20:23], off
	global_store_dwordx4 v[16:17], v[12:15], off
	;; [unrolled: 1-line block ×5, first 2 shown]
	s_endpgm
	.section	.rodata,"a",@progbits
	.p2align	6, 0x0
	.amdhsa_kernel fft_rtc_back_len17_factors_17_wgs_120_tpt_1_dp_op_CI_CI_sbrc_xy_z_diag_dirReg
		.amdhsa_group_segment_fixed_size 0
		.amdhsa_private_segment_fixed_size 0
		.amdhsa_kernarg_size 104
		.amdhsa_user_sgpr_count 6
		.amdhsa_user_sgpr_private_segment_buffer 1
		.amdhsa_user_sgpr_dispatch_ptr 0
		.amdhsa_user_sgpr_queue_ptr 0
		.amdhsa_user_sgpr_kernarg_segment_ptr 1
		.amdhsa_user_sgpr_dispatch_id 0
		.amdhsa_user_sgpr_flat_scratch_init 0
		.amdhsa_user_sgpr_private_segment_size 0
		.amdhsa_wavefront_size32 1
		.amdhsa_uses_dynamic_stack 0
		.amdhsa_system_sgpr_private_segment_wavefront_offset 0
		.amdhsa_system_sgpr_workgroup_id_x 1
		.amdhsa_system_sgpr_workgroup_id_y 0
		.amdhsa_system_sgpr_workgroup_id_z 0
		.amdhsa_system_sgpr_workgroup_info 0
		.amdhsa_system_vgpr_workitem_id 0
		.amdhsa_next_free_vgpr 195
		.amdhsa_next_free_sgpr 61
		.amdhsa_reserve_vcc 1
		.amdhsa_reserve_flat_scratch 0
		.amdhsa_float_round_mode_32 0
		.amdhsa_float_round_mode_16_64 0
		.amdhsa_float_denorm_mode_32 3
		.amdhsa_float_denorm_mode_16_64 3
		.amdhsa_dx10_clamp 1
		.amdhsa_ieee_mode 1
		.amdhsa_fp16_overflow 0
		.amdhsa_workgroup_processor_mode 1
		.amdhsa_memory_ordered 1
		.amdhsa_forward_progress 0
		.amdhsa_shared_vgpr_count 0
		.amdhsa_exception_fp_ieee_invalid_op 0
		.amdhsa_exception_fp_denorm_src 0
		.amdhsa_exception_fp_ieee_div_zero 0
		.amdhsa_exception_fp_ieee_overflow 0
		.amdhsa_exception_fp_ieee_underflow 0
		.amdhsa_exception_fp_ieee_inexact 0
		.amdhsa_exception_int_div_zero 0
	.end_amdhsa_kernel
	.text
.Lfunc_end0:
	.size	fft_rtc_back_len17_factors_17_wgs_120_tpt_1_dp_op_CI_CI_sbrc_xy_z_diag_dirReg, .Lfunc_end0-fft_rtc_back_len17_factors_17_wgs_120_tpt_1_dp_op_CI_CI_sbrc_xy_z_diag_dirReg
                                        ; -- End function
	.section	.AMDGPU.csdata,"",@progbits
; Kernel info:
; codeLenInByte = 10020
; NumSgprs: 63
; NumVgprs: 195
; ScratchSize: 0
; MemoryBound: 0
; FloatMode: 240
; IeeeMode: 1
; LDSByteSize: 0 bytes/workgroup (compile time only)
; SGPRBlocks: 7
; VGPRBlocks: 24
; NumSGPRsForWavesPerEU: 63
; NumVGPRsForWavesPerEU: 195
; Occupancy: 4
; WaveLimiterHint : 1
; COMPUTE_PGM_RSRC2:SCRATCH_EN: 0
; COMPUTE_PGM_RSRC2:USER_SGPR: 6
; COMPUTE_PGM_RSRC2:TRAP_HANDLER: 0
; COMPUTE_PGM_RSRC2:TGID_X_EN: 1
; COMPUTE_PGM_RSRC2:TGID_Y_EN: 0
; COMPUTE_PGM_RSRC2:TGID_Z_EN: 0
; COMPUTE_PGM_RSRC2:TIDIG_COMP_CNT: 0
	.text
	.p2alignl 6, 3214868480
	.fill 48, 4, 3214868480
	.type	__hip_cuid_bbd4b14e1d7485ee,@object ; @__hip_cuid_bbd4b14e1d7485ee
	.section	.bss,"aw",@nobits
	.globl	__hip_cuid_bbd4b14e1d7485ee
__hip_cuid_bbd4b14e1d7485ee:
	.byte	0                               ; 0x0
	.size	__hip_cuid_bbd4b14e1d7485ee, 1

	.ident	"AMD clang version 19.0.0git (https://github.com/RadeonOpenCompute/llvm-project roc-6.4.0 25133 c7fe45cf4b819c5991fe208aaa96edf142730f1d)"
	.section	".note.GNU-stack","",@progbits
	.addrsig
	.addrsig_sym __hip_cuid_bbd4b14e1d7485ee
	.amdgpu_metadata
---
amdhsa.kernels:
  - .args:
      - .actual_access:  read_only
        .address_space:  global
        .offset:         0
        .size:           8
        .value_kind:     global_buffer
      - .offset:         8
        .size:           8
        .value_kind:     by_value
      - .actual_access:  read_only
        .address_space:  global
        .offset:         16
        .size:           8
        .value_kind:     global_buffer
      - .actual_access:  read_only
        .address_space:  global
        .offset:         24
        .size:           8
        .value_kind:     global_buffer
      - .actual_access:  read_only
        .address_space:  global
        .offset:         32
        .size:           8
        .value_kind:     global_buffer
      - .offset:         40
        .size:           8
        .value_kind:     by_value
      - .actual_access:  read_only
        .address_space:  global
        .offset:         48
        .size:           8
        .value_kind:     global_buffer
      - .actual_access:  read_only
        .address_space:  global
        .offset:         56
        .size:           8
        .value_kind:     global_buffer
      - .offset:         64
        .size:           4
        .value_kind:     by_value
      - .actual_access:  read_only
        .address_space:  global
        .offset:         72
        .size:           8
        .value_kind:     global_buffer
      - .actual_access:  read_only
        .address_space:  global
        .offset:         80
        .size:           8
        .value_kind:     global_buffer
      - .actual_access:  read_only
        .address_space:  global
        .offset:         88
        .size:           8
        .value_kind:     global_buffer
      - .actual_access:  write_only
        .address_space:  global
        .offset:         96
        .size:           8
        .value_kind:     global_buffer
    .group_segment_fixed_size: 0
    .kernarg_segment_align: 8
    .kernarg_segment_size: 104
    .language:       OpenCL C
    .language_version:
      - 2
      - 0
    .max_flat_workgroup_size: 120
    .name:           fft_rtc_back_len17_factors_17_wgs_120_tpt_1_dp_op_CI_CI_sbrc_xy_z_diag_dirReg
    .private_segment_fixed_size: 0
    .sgpr_count:     63
    .sgpr_spill_count: 0
    .symbol:         fft_rtc_back_len17_factors_17_wgs_120_tpt_1_dp_op_CI_CI_sbrc_xy_z_diag_dirReg.kd
    .uniform_work_group_size: 1
    .uses_dynamic_stack: false
    .vgpr_count:     195
    .vgpr_spill_count: 0
    .wavefront_size: 32
    .workgroup_processor_mode: 1
amdhsa.target:   amdgcn-amd-amdhsa--gfx1030
amdhsa.version:
  - 1
  - 2
...

	.end_amdgpu_metadata
